;; amdgpu-corpus repo=vllm-project/vllm kind=triton arch=gfx950 opt=O3 lang=triton
	.amdgcn_target "amdgcn-amd-amdhsa--gfx950"
	.amdhsa_code_object_version 5
	.text
	.globl	_per_token_quant_int8           ; -- Begin function _per_token_quant_int8
	.p2align	8
	.type	_per_token_quant_int8,@function
_per_token_quant_int8:                  ; @_per_token_quant_int8
.Lfunc_begin0:
	.cfi_sections .debug_frame
	.cfi_startproc
; %bb.9:
	.file	1 "/root/src/amdgpu-assembly/repos/vllm-project__vllm/triton_aot_kernels" "int8_utils_aot.py"
	.loc	1 13 0 prologue_end             ; int8_utils_aot.py:13:0
	s_load_dwordx2 s[2:3], s[0:1], 0x0
	s_load_dwordx8 s[4:11], s[0:1], 0x8
	s_load_dwordx4 s[12:15], s[0:1], 0x28
	s_waitcnt lgkmcnt(0)
	s_branch .LBB0_0
	.loc	1 0 0 is_stmt 0                 ; :0:0
.Ltmp0:
	.p2align	8
; %bb.10:
.LBB0_0:
.Ltmp1:
	.loc	1 35 33 is_stmt 1               ; int8_utils_aot.py:35:33
	v_readfirstlane_b32 s17, v0
	.loc	1 25 24                         ; int8_utils_aot.py:25:24
	v_and_b32_e32 v1, 63, v0
	s_and_b32 s0, s17, 0xc0
	v_or_b32_e32 v5, s0, v1
	.loc	1 28 33                         ; int8_utils_aot.py:28:33
	s_mul_i32 s0, s8, s16
	.loc	1 28 24 is_stmt 0               ; int8_utils_aot.py:28:24
	s_ashr_i32 s1, s0, 31
	s_lshl_b64 s[0:1], s[0:1], 1
	s_add_u32 s20, s2, s0
	s_addc_u32 s0, s3, s1
	.loc	1 25 24 is_stmt 1               ; int8_utils_aot.py:25:24
	v_or_b32_e32 v4, 0x100, v5
	v_or_b32_e32 v3, 0x200, v5
	;; [unrolled: 1-line block ×3, first 2 shown]
	.loc	1 28 16                         ; int8_utils_aot.py:28:16
	s_and_b32 s21, s0, 0xffff
	v_lshlrev_b32_e32 v6, 1, v5
	v_bfrev_b32_e32 v7, 1
	.loc	1 26 18                         ; int8_utils_aot.py:26:18
	v_cmp_gt_i32_e64 s[0:1], s10, v5
	s_mov_b32 s23, 0x27000
	s_mov_b32 s22, 0x7ffffffe
	.loc	1 28 16                         ; int8_utils_aot.py:28:16
	v_cndmask_b32_e64 v6, v7, v6, s[0:1]
	v_lshlrev_b32_e32 v8, 1, v4
	.loc	1 26 18                         ; int8_utils_aot.py:26:18
	v_cmp_gt_i32_e64 s[2:3], s10, v4
	.loc	1 28 16                         ; int8_utils_aot.py:28:16
	v_lshlrev_b32_e32 v9, 1, v3
	.loc	1 26 18                         ; int8_utils_aot.py:26:18
	v_cmp_gt_i32_e64 s[12:13], s10, v3
	.loc	1 28 16                         ; int8_utils_aot.py:28:16
	;; [unrolled: 4-line block ×3, first 2 shown]
	v_cndmask_b32_e64 v8, v7, v8, s[2:3]
	v_cndmask_b32_e64 v9, v7, v9, s[12:13]
	;; [unrolled: 1-line block ×3, first 2 shown]
	buffer_load_ushort v10, v6, s[20:23], 0 offen
	buffer_load_ushort v11, v8, s[20:23], 0 offen
	;; [unrolled: 1-line block ×4, first 2 shown]
.Ltmp2:
	.file	2 "/root/.local/lib/python3.13/site-packages/triton/language" "standard.py"
	.loc	2 191 40                        ; standard.py:191:40 @[ int8_utils_aot.py:29:31 ]
	v_cmp_eq_u32_e32 vcc, 0, v1
.Ltmp3:
	.loc	1 28 75                         ; int8_utils_aot.py:28:75
	s_waitcnt vmcnt(3)
	v_cvt_f32_f16_e32 v9, v10
	s_waitcnt vmcnt(2)
	v_cvt_f32_f16_e32 v8, v11
	;; [unrolled: 2-line block ×4, first 2 shown]
.Ltmp4:
	.loc	2 170 27                        ; standard.py:170:27 @[ standard.py:191:40 @[ int8_utils_aot.py:29:31 ] ]
	v_max_f32_e64 v10, |v9|, |v8|
	v_max3_f32 v10, v10, |v7|, |v6|
.Ltmp5:
	.loc	2 191 40                        ; standard.py:191:40 @[ int8_utils_aot.py:29:31 ]
	s_nop 1
	v_mov_b32_dpp v11, v10 row_shr:8 row_mask:0xf bank_mask:0xf bound_ctrl:1
.Ltmp6:
	.loc	2 170 27                        ; standard.py:170:27 @[ standard.py:191:40 @[ int8_utils_aot.py:29:31 ] ]
	v_max_f32_e32 v11, v11, v11
	v_max_f32_e32 v10, v10, v11
.Ltmp7:
	.loc	2 191 40                        ; standard.py:191:40 @[ int8_utils_aot.py:29:31 ]
	s_nop 1
	v_mov_b32_dpp v11, v10 row_shr:4 row_mask:0xf bank_mask:0xf bound_ctrl:1
.Ltmp8:
	.loc	2 170 27                        ; standard.py:170:27 @[ standard.py:191:40 @[ int8_utils_aot.py:29:31 ] ]
	v_max_f32_e32 v11, v11, v11
	v_max_f32_e32 v10, v10, v11
.Ltmp9:
	.loc	2 191 40                        ; standard.py:191:40 @[ int8_utils_aot.py:29:31 ]
	s_nop 1
	v_mov_b32_dpp v11, v10 row_shr:2 row_mask:0xf bank_mask:0xf bound_ctrl:1
.Ltmp10:
	.loc	2 170 27                        ; standard.py:170:27 @[ standard.py:191:40 @[ int8_utils_aot.py:29:31 ] ]
	v_max_f32_e32 v11, v11, v11
	v_max_f32_e32 v10, v10, v11
.Ltmp11:
	.loc	2 191 40                        ; standard.py:191:40 @[ int8_utils_aot.py:29:31 ]
	s_nop 1
	v_mov_b32_dpp v11, v10 row_shr:1 row_mask:0xf bank_mask:0xf bound_ctrl:1
.Ltmp12:
	.loc	2 170 27                        ; standard.py:170:27 @[ standard.py:191:40 @[ int8_utils_aot.py:29:31 ] ]
	v_max_f32_e32 v11, v11, v11
	v_max_f32_e32 v10, v10, v11
.Ltmp13:
	.loc	2 191 40                        ; standard.py:191:40 @[ int8_utils_aot.py:29:31 ]
	v_mov_b32_e32 v11, v10
	s_nop 1
	v_mov_b32_dpp v11, v11 row_bcast:15 row_mask:0xa bank_mask:0xf bound_ctrl:1
.Ltmp14:
	.loc	2 170 27                        ; standard.py:170:27 @[ standard.py:191:40 @[ int8_utils_aot.py:29:31 ] ]
	v_max_f32_e32 v11, v11, v11
	v_max_f32_e32 v10, v10, v11
.Ltmp15:
	.loc	2 191 40                        ; standard.py:191:40 @[ int8_utils_aot.py:29:31 ]
	s_nop 1
	v_mov_b32_dpp v11, v10 row_bcast:31 row_mask:0xf bank_mask:0xf bound_ctrl:1
.Ltmp16:
	.loc	2 170 27                        ; standard.py:170:27 @[ standard.py:191:40 @[ int8_utils_aot.py:29:31 ] ]
	v_max_f32_e32 v11, v11, v11
	v_max_f32_e32 v10, v10, v11
.Ltmp17:
	.loc	2 191 40                        ; standard.py:191:40 @[ int8_utils_aot.py:29:31 ]
	s_nop 0
	v_readlane_b32 s8, v10, 63
	s_and_saveexec_b64 s[14:15], vcc
	s_cbranch_execz .LBB0_2
; %bb.1:
	.loc	2 0 40 is_stmt 0                ; standard.py:0:40
	s_lshr_b32 s18, s17, 4
	s_and_b32 s18, s18, 12
	s_add_i32 s18, s18, 0
	.loc	2 191 40                        ; standard.py:191:40 @[ int8_utils_aot.py:29:31 ]
	v_mov_b32_e32 v10, s18
	v_mov_b32_e32 v11, s8
	ds_write_b32 v10, v11
.LBB0_2:
	.loc	2 0 40                          ; standard.py:0:40
	s_or_b64 exec, exec, s[14:15]
	.loc	2 191 40                        ; standard.py:191:40 @[ int8_utils_aot.py:29:31 ]
	v_cmp_gt_u32_e32 vcc, 4, v0
	v_lshl_add_u32 v10, v0, 2, 0
.Ltmp18:
	.loc	1 29 31 is_stmt 1               ; int8_utils_aot.py:29:31
	v_mov_b32_e32 v11, 0
.Ltmp19:
	.loc	2 191 40                        ; standard.py:191:40 @[ int8_utils_aot.py:29:31 ]
	s_waitcnt lgkmcnt(0)
	s_barrier
	s_and_saveexec_b64 s[14:15], vcc
; %bb.3:
	ds_read_b32 v11, v10
; %bb.4:
	.loc	2 0 40 is_stmt 0                ; standard.py:0:40
	s_or_b64 exec, exec, s[14:15]
.Ltmp20:
	.loc	2 170 27 is_stmt 1              ; standard.py:170:27 @[ standard.py:191:40 @[ int8_utils_aot.py:29:31 ] ]
	s_waitcnt lgkmcnt(0)
	v_max_f32_e32 v12, v11, v11
.Ltmp21:
	.loc	2 191 40                        ; standard.py:191:40 @[ int8_utils_aot.py:29:31 ]
	v_mov_b32_dpp v11, v11 quad_perm:[2,3,0,1] row_mask:0xf bank_mask:0xf
.Ltmp22:
	.loc	2 170 27                        ; standard.py:170:27 @[ standard.py:191:40 @[ int8_utils_aot.py:29:31 ] ]
	v_max_f32_e32 v11, v11, v11
	v_max_f32_e32 v11, v12, v11
.Ltmp23:
	.loc	2 191 40                        ; standard.py:191:40 @[ int8_utils_aot.py:29:31 ]
	v_and_b32_e32 v0, 3, v0
	v_mov_b32_e32 v12, v11
	v_cmp_eq_u32_e64 s[14:15], 0, v0
	s_and_b64 s[18:19], vcc, s[14:15]
	v_mov_b32_dpp v12, v12 quad_perm:[1,0,3,2] row_mask:0xf bank_mask:0xf
	s_and_saveexec_b64 s[14:15], s[18:19]
; %bb.5:
	.loc	2 0 40 is_stmt 0                ; standard.py:0:40
	v_max_f32_e32 v0, v12, v12
	v_max_f32_e32 v11, v11, v11
	;; [unrolled: 1-line block ×3, first 2 shown]
	.loc	2 191 40                        ; standard.py:191:40 @[ int8_utils_aot.py:29:31 ]
	ds_write_b32 v10, v0
; %bb.6:
	.loc	2 0 40                          ; standard.py:0:40
	s_or_b64 exec, exec, s[14:15]
	.loc	2 191 40                        ; standard.py:191:40 @[ int8_utils_aot.py:29:31 ]
	v_mov_b32_e32 v0, 0
	s_waitcnt lgkmcnt(0)
	s_barrier
	ds_read_b32 v10, v0
	s_mov_b32 s8, 0x42fe0000
.Ltmp24:
	.loc	1 9 40 is_stmt 1                ; int8_utils_aot.py:9:40 @[ int8_utils_aot.py:32:21 ]
	s_brev_b32 s18, -2
.Ltmp25:
	.loc	1 34 31                         ; int8_utils_aot.py:34:31
	s_mul_i32 s9, s9, s16
	.loc	1 35 33                         ; int8_utils_aot.py:35:33
	s_lshr_b32 s17, s17, 6
	.loc	1 29 43                         ; int8_utils_aot.py:29:43
	s_waitcnt lgkmcnt(0)
	v_max_f32_e32 v10, v10, v10
	v_max_f32_e32 v10, 0x2edbe6ff, v10
	.loc	1 31 21                         ; int8_utils_aot.py:31:21
	v_div_scale_f32 v11, s[14:15], v10, v10, s8
	v_rcp_f32_e32 v12, v11
	v_div_scale_f32 v13, vcc, s8, v10, s8
	.loc	1 35 33                         ; int8_utils_aot.py:35:33
	v_or_b32_e32 v1, s17, v1
	.loc	1 31 21                         ; int8_utils_aot.py:31:21
	v_fma_f32 v14, -v11, v12, 1.0
	v_fmac_f32_e32 v12, v14, v12
	v_mul_f32_e32 v14, v13, v12
	v_fma_f32 v15, -v11, v14, v13
	v_fmac_f32_e32 v14, v15, v12
	v_fma_f32 v11, -v11, v14, v13
	v_div_fmas_f32 v11, v11, v12, v14
	v_div_fixup_f32 v11, v11, v10, s8
	.loc	1 31 15 is_stmt 0               ; int8_utils_aot.py:31:15
	v_mul_f32_e32 v12, v11, v9
.Ltmp26:
	.loc	1 9 40 is_stmt 1                ; int8_utils_aot.py:9:40 @[ int8_utils_aot.py:32:21 ]
	v_trunc_f32_e32 v16, v12
	v_fma_f32 v9, v11, v9, -v16
	v_cmp_ge_f32_e64 s[14:15], |v9|, 0.5
.Ltmp27:
	.loc	1 31 15                         ; int8_utils_aot.py:31:15
	v_mul_f32_e32 v13, v11, v8
	v_mul_f32_e32 v14, v11, v7
.Ltmp28:
	.loc	1 9 40                          ; int8_utils_aot.py:9:40 @[ int8_utils_aot.py:32:21 ]
	v_cndmask_b32_e64 v9, 0, 1.0, s[14:15]
	v_bfi_b32 v9, s18, v9, v12
	v_trunc_f32_e32 v12, v13
	v_fma_f32 v8, v11, v8, -v12
	v_cmp_ge_f32_e64 s[14:15], |v8|, 0.5
.Ltmp29:
	.loc	1 31 15                         ; int8_utils_aot.py:31:15
	v_mul_f32_e32 v15, v11, v6
.Ltmp30:
	.loc	1 9 40                          ; int8_utils_aot.py:9:40 @[ int8_utils_aot.py:32:21 ]
	v_add_f32_e32 v9, v16, v9
	v_cndmask_b32_e64 v8, 0, 1.0, s[14:15]
	v_bfi_b32 v8, s18, v8, v13
	v_add_f32_e32 v8, v12, v8
	v_trunc_f32_e32 v12, v14
	v_fma_f32 v7, v11, v7, -v12
	v_cmp_ge_f32_e64 s[14:15], |v7|, 0.5
	.loc	1 9 46 is_stmt 0                ; int8_utils_aot.py:9:46 @[ int8_utils_aot.py:32:21 ]
	v_cvt_i32_f32_e32 v9, v9
	v_cvt_i32_f32_e32 v8, v8
	.loc	1 9 40                          ; int8_utils_aot.py:9:40 @[ int8_utils_aot.py:32:21 ]
	v_cndmask_b32_e64 v7, 0, 1.0, s[14:15]
	v_bfi_b32 v7, s18, v7, v14
	v_add_f32_e32 v7, v12, v7
	v_trunc_f32_e32 v12, v15
	v_fma_f32 v6, v11, v6, -v12
	v_cmp_ge_f32_e64 s[14:15], |v6|, 0.5
	.loc	1 9 46                          ; int8_utils_aot.py:9:46 @[ int8_utils_aot.py:32:21 ]
	v_cvt_i32_f32_e32 v7, v7
.Ltmp31:
	.loc	1 34 49 is_stmt 1               ; int8_utils_aot.py:34:49
	v_bfrev_b32_e32 v11, 1
.Ltmp32:
	.loc	1 9 40                          ; int8_utils_aot.py:9:40 @[ int8_utils_aot.py:32:21 ]
	v_cndmask_b32_e64 v6, 0, 1.0, s[14:15]
	v_bfi_b32 v6, s18, v6, v15
	v_add_f32_e32 v6, v12, v6
	.loc	1 9 46 is_stmt 0                ; int8_utils_aot.py:9:46 @[ int8_utils_aot.py:32:21 ]
	v_cvt_i32_f32_e32 v6, v6
.Ltmp33:
	.loc	1 34 22 is_stmt 1               ; int8_utils_aot.py:34:22
	s_ashr_i32 s14, s9, 31
	s_add_u32 s20, s4, s9
	s_addc_u32 s4, s5, s14
	.loc	1 34 49 is_stmt 0               ; int8_utils_aot.py:34:49
	s_and_b32 s21, s4, 0xffff
	v_cndmask_b32_e64 v5, v11, v5, s[0:1]
	v_cndmask_b32_e64 v4, v11, v4, s[2:3]
	;; [unrolled: 1-line block ×4, first 2 shown]
	.loc	1 35 33 is_stmt 1               ; int8_utils_aot.py:35:33
	v_cmp_eq_u32_e32 vcc, 0, v1
	.loc	1 34 49                         ; int8_utils_aot.py:34:49
	buffer_store_byte v9, v5, s[20:23], 0 offen
	buffer_store_byte v8, v4, s[20:23], 0 offen
	;; [unrolled: 1-line block ×4, first 2 shown]
	.loc	1 35 33                         ; int8_utils_aot.py:35:33
	s_and_saveexec_b64 s[0:1], vcc
	s_cbranch_execz .LBB0_8
; %bb.7:
	.loc	1 30 23                         ; int8_utils_aot.py:30:23
	v_div_scale_f32 v1, s[0:1], s8, s8, v10
	v_rcp_f32_e32 v2, v1
	v_div_scale_f32 v3, vcc, v10, s8, v10
	.loc	1 35 25                         ; int8_utils_aot.py:35:25
	s_ashr_i32 s17, s16, 31
	.loc	1 30 23                         ; int8_utils_aot.py:30:23
	v_fma_f32 v4, -v1, v2, 1.0
	v_fmac_f32_e32 v2, v4, v2
	v_mul_f32_e32 v4, v3, v2
	v_fma_f32 v5, -v1, v4, v3
	v_fmac_f32_e32 v4, v5, v2
	v_fma_f32 v1, -v1, v4, v3
	.loc	1 35 25                         ; int8_utils_aot.py:35:25
	s_lshl_b64 s[0:1], s[16:17], 2
	.loc	1 30 23                         ; int8_utils_aot.py:30:23
	v_div_fmas_f32 v1, v1, v2, v4
	.loc	1 35 25                         ; int8_utils_aot.py:35:25
	s_add_u32 s0, s6, s0
	.loc	1 30 23                         ; int8_utils_aot.py:30:23
	v_div_fixup_f32 v1, v1, s8, v10
	.loc	1 35 25                         ; int8_utils_aot.py:35:25
	s_addc_u32 s1, s7, s1
	.loc	1 35 33 is_stmt 0               ; int8_utils_aot.py:35:33
	global_store_dword v0, v1, s[0:1]
.LBB0_8:
	.loc	1 35 4                          ; int8_utils_aot.py:35:4
	s_endpgm
.Ltmp34:
	.section	.rodata,"a",@progbits
	.p2align	6, 0x0
	.amdhsa_kernel _per_token_quant_int8
		.amdhsa_group_segment_fixed_size 0
		.amdhsa_private_segment_fixed_size 0
		.amdhsa_kernarg_size 56
		.amdhsa_user_sgpr_count 16
		.amdhsa_user_sgpr_dispatch_ptr 0
		.amdhsa_user_sgpr_queue_ptr 0
		.amdhsa_user_sgpr_kernarg_segment_ptr 1
		.amdhsa_user_sgpr_dispatch_id 0
		.amdhsa_user_sgpr_kernarg_preload_length 14
		.amdhsa_user_sgpr_kernarg_preload_offset 0
		.amdhsa_user_sgpr_private_segment_size 0
		.amdhsa_uses_dynamic_stack 0
		.amdhsa_enable_private_segment 0
		.amdhsa_system_sgpr_workgroup_id_x 1
		.amdhsa_system_sgpr_workgroup_id_y 0
		.amdhsa_system_sgpr_workgroup_id_z 0
		.amdhsa_system_sgpr_workgroup_info 0
		.amdhsa_system_vgpr_workitem_id 0
		.amdhsa_next_free_vgpr 17
		.amdhsa_next_free_sgpr 24
		.amdhsa_accum_offset 20
		.amdhsa_reserve_vcc 1
		.amdhsa_reserve_xnack_mask 1
		.amdhsa_float_round_mode_32 0
		.amdhsa_float_round_mode_16_64 0
		.amdhsa_float_denorm_mode_32 3
		.amdhsa_float_denorm_mode_16_64 3
		.amdhsa_dx10_clamp 1
		.amdhsa_ieee_mode 1
		.amdhsa_fp16_overflow 0
		.amdhsa_tg_split 0
		.amdhsa_exception_fp_ieee_invalid_op 0
		.amdhsa_exception_fp_denorm_src 0
		.amdhsa_exception_fp_ieee_div_zero 0
		.amdhsa_exception_fp_ieee_overflow 0
		.amdhsa_exception_fp_ieee_underflow 0
		.amdhsa_exception_fp_ieee_inexact 0
		.amdhsa_exception_int_div_zero 0
	.end_amdhsa_kernel
	.text
.Lfunc_end0:
	.size	_per_token_quant_int8, .Lfunc_end0-_per_token_quant_int8
	.cfi_endproc
                                        ; -- End function
	.set _per_token_quant_int8.num_vgpr, 17
	.set _per_token_quant_int8.num_agpr, 0
	.set _per_token_quant_int8.numbered_sgpr, 24
	.set _per_token_quant_int8.num_named_barrier, 0
	.set _per_token_quant_int8.private_seg_size, 0
	.set _per_token_quant_int8.uses_vcc, 1
	.set _per_token_quant_int8.uses_flat_scratch, 0
	.set _per_token_quant_int8.has_dyn_sized_stack, 0
	.set _per_token_quant_int8.has_recursion, 0
	.set _per_token_quant_int8.has_indirect_call, 0
	.section	.AMDGPU.csdata,"",@progbits
; Kernel info:
; codeLenInByte = 1332
; TotalNumSgprs: 30
; NumVgprs: 17
; NumAgprs: 0
; TotalNumVgprs: 17
; ScratchSize: 0
; MemoryBound: 0
; FloatMode: 240
; IeeeMode: 1
; LDSByteSize: 0 bytes/workgroup (compile time only)
; SGPRBlocks: 3
; VGPRBlocks: 2
; NumSGPRsForWavesPerEU: 30
; NumVGPRsForWavesPerEU: 17
; AccumOffset: 20
; Occupancy: 8
; WaveLimiterHint : 0
; COMPUTE_PGM_RSRC2:SCRATCH_EN: 0
; COMPUTE_PGM_RSRC2:USER_SGPR: 16
; COMPUTE_PGM_RSRC2:TRAP_HANDLER: 0
; COMPUTE_PGM_RSRC2:TGID_X_EN: 1
; COMPUTE_PGM_RSRC2:TGID_Y_EN: 0
; COMPUTE_PGM_RSRC2:TGID_Z_EN: 0
; COMPUTE_PGM_RSRC2:TIDIG_COMP_CNT: 0
; COMPUTE_PGM_RSRC3_GFX90A:ACCUM_OFFSET: 4
; COMPUTE_PGM_RSRC3_GFX90A:TG_SPLIT: 0
	.text
	.p2alignl 6, 3212836864
	.fill 256, 4, 3212836864
	.section	.AMDGPU.gpr_maximums,"",@progbits
	.set amdgpu.max_num_vgpr, 0
	.set amdgpu.max_num_agpr, 0
	.set amdgpu.max_num_sgpr, 0
	.set amdgpu.max_num_named_barrier, 0
	.text
	.section	.debug_abbrev,"",@progbits
	.byte	1                               ; Abbreviation Code
	.byte	17                              ; DW_TAG_compile_unit
	.byte	1                               ; DW_CHILDREN_yes
	.byte	37                              ; DW_AT_producer
	.byte	14                              ; DW_FORM_strp
	.byte	19                              ; DW_AT_language
	.byte	5                               ; DW_FORM_data2
	.byte	3                               ; DW_AT_name
	.byte	14                              ; DW_FORM_strp
	.byte	16                              ; DW_AT_stmt_list
	.byte	23                              ; DW_FORM_sec_offset
	.byte	27                              ; DW_AT_comp_dir
	.byte	14                              ; DW_FORM_strp
	.byte	17                              ; DW_AT_low_pc
	.byte	1                               ; DW_FORM_addr
	.byte	18                              ; DW_AT_high_pc
	.byte	6                               ; DW_FORM_data4
	.byte	0                               ; EOM(1)
	.byte	0                               ; EOM(2)
	.byte	2                               ; Abbreviation Code
	.byte	46                              ; DW_TAG_subprogram
	.byte	0                               ; DW_CHILDREN_no
	.byte	3                               ; DW_AT_name
	.byte	14                              ; DW_FORM_strp
	.byte	32                              ; DW_AT_inline
	.byte	11                              ; DW_FORM_data1
	.byte	0                               ; EOM(1)
	.byte	0                               ; EOM(2)
	.byte	3                               ; Abbreviation Code
	.byte	46                              ; DW_TAG_subprogram
	.byte	1                               ; DW_CHILDREN_yes
	.byte	17                              ; DW_AT_low_pc
	.byte	1                               ; DW_FORM_addr
	.byte	18                              ; DW_AT_high_pc
	.byte	6                               ; DW_FORM_data4
	.byte	49                              ; DW_AT_abstract_origin
	.byte	19                              ; DW_FORM_ref4
	.byte	0                               ; EOM(1)
	.byte	0                               ; EOM(2)
	.byte	4                               ; Abbreviation Code
	.byte	29                              ; DW_TAG_inlined_subroutine
	.byte	1                               ; DW_CHILDREN_yes
	.byte	49                              ; DW_AT_abstract_origin
	.byte	19                              ; DW_FORM_ref4
	.byte	85                              ; DW_AT_ranges
	.byte	23                              ; DW_FORM_sec_offset
	.byte	88                              ; DW_AT_call_file
	.byte	11                              ; DW_FORM_data1
	.byte	89                              ; DW_AT_call_line
	.byte	11                              ; DW_FORM_data1
	.byte	87                              ; DW_AT_call_column
	.byte	11                              ; DW_FORM_data1
	.byte	0                               ; EOM(1)
	.byte	0                               ; EOM(2)
	.byte	5                               ; Abbreviation Code
	.byte	29                              ; DW_TAG_inlined_subroutine
	.byte	0                               ; DW_CHILDREN_no
	.byte	49                              ; DW_AT_abstract_origin
	.byte	19                              ; DW_FORM_ref4
	.byte	85                              ; DW_AT_ranges
	.byte	23                              ; DW_FORM_sec_offset
	.byte	88                              ; DW_AT_call_file
	.byte	11                              ; DW_FORM_data1
	.byte	89                              ; DW_AT_call_line
	.byte	11                              ; DW_FORM_data1
	.byte	87                              ; DW_AT_call_column
	.byte	11                              ; DW_FORM_data1
	.byte	0                               ; EOM(1)
	.byte	0                               ; EOM(2)
	;; [unrolled: 1-line block ×3, first 2 shown]
	.section	.debug_info,"",@progbits
.Lcu_begin0:
	.long	.Ldebug_info_end0-.Ldebug_info_start0 ; Length of Unit
.Ldebug_info_start0:
	.short	4                               ; DWARF version number
	.long	.debug_abbrev                   ; Offset Into Abbrev. Section
	.byte	8                               ; Address Size (in bytes)
	.byte	1                               ; Abbrev [1] 0xb:0x5d DW_TAG_compile_unit
	.long	.Linfo_string0                  ; DW_AT_producer
	.short	2                               ; DW_AT_language
	.long	.Linfo_string1                  ; DW_AT_name
	.long	.Lline_table_start0             ; DW_AT_stmt_list
	.long	.Linfo_string2                  ; DW_AT_comp_dir
	.quad	.Lfunc_begin0                   ; DW_AT_low_pc
	.long	.Lfunc_end0-.Lfunc_begin0       ; DW_AT_high_pc
	.byte	2                               ; Abbrev [2] 0x2a:0x6 DW_TAG_subprogram
	.long	.Linfo_string3                  ; DW_AT_name
	.byte	1                               ; DW_AT_inline
	.byte	3                               ; Abbrev [3] 0x30:0x37 DW_TAG_subprogram
	.quad	.Lfunc_begin0                   ; DW_AT_low_pc
	.long	.Lfunc_end0-.Lfunc_begin0       ; DW_AT_high_pc
	.long	42                              ; DW_AT_abstract_origin
	.byte	4                               ; Abbrev [4] 0x41:0x19 DW_TAG_inlined_subroutine
	.long	42                              ; DW_AT_abstract_origin
	.long	.Ldebug_ranges0                 ; DW_AT_ranges
	.byte	1                               ; DW_AT_call_file
	.byte	29                              ; DW_AT_call_line
	.byte	31                              ; DW_AT_call_column
	.byte	5                               ; Abbrev [5] 0x4d:0xc DW_TAG_inlined_subroutine
	.long	42                              ; DW_AT_abstract_origin
	.long	.Ldebug_ranges1                 ; DW_AT_ranges
	.byte	2                               ; DW_AT_call_file
	.byte	191                             ; DW_AT_call_line
	.byte	40                              ; DW_AT_call_column
	.byte	0                               ; End Of Children Mark
	.byte	5                               ; Abbrev [5] 0x5a:0xc DW_TAG_inlined_subroutine
	.long	42                              ; DW_AT_abstract_origin
	.long	.Ldebug_ranges2                 ; DW_AT_ranges
	.byte	1                               ; DW_AT_call_file
	.byte	32                              ; DW_AT_call_line
	.byte	21                              ; DW_AT_call_column
	.byte	0                               ; End Of Children Mark
	.byte	0                               ; End Of Children Mark
.Ldebug_info_end0:
	.section	.debug_ranges,"",@progbits
.Ldebug_ranges0:
	.quad	.Ltmp2-.Lfunc_begin0
	.quad	.Ltmp3-.Lfunc_begin0
	.quad	.Ltmp4-.Lfunc_begin0
	.quad	.Ltmp18-.Lfunc_begin0
	.quad	.Ltmp19-.Lfunc_begin0
	.quad	.Ltmp24-.Lfunc_begin0
	.quad	0
	.quad	0
.Ldebug_ranges1:
	.quad	.Ltmp4-.Lfunc_begin0
	.quad	.Ltmp5-.Lfunc_begin0
	.quad	.Ltmp6-.Lfunc_begin0
	.quad	.Ltmp7-.Lfunc_begin0
	.quad	.Ltmp8-.Lfunc_begin0
	.quad	.Ltmp9-.Lfunc_begin0
	.quad	.Ltmp10-.Lfunc_begin0
	.quad	.Ltmp11-.Lfunc_begin0
	.quad	.Ltmp12-.Lfunc_begin0
	.quad	.Ltmp13-.Lfunc_begin0
	.quad	.Ltmp14-.Lfunc_begin0
	.quad	.Ltmp15-.Lfunc_begin0
	.quad	.Ltmp16-.Lfunc_begin0
	.quad	.Ltmp17-.Lfunc_begin0
	.quad	.Ltmp20-.Lfunc_begin0
	.quad	.Ltmp21-.Lfunc_begin0
	.quad	.Ltmp22-.Lfunc_begin0
	.quad	.Ltmp23-.Lfunc_begin0
	.quad	0
	.quad	0
.Ldebug_ranges2:
	.quad	.Ltmp24-.Lfunc_begin0
	.quad	.Ltmp25-.Lfunc_begin0
	;; [unrolled: 1-line block ×10, first 2 shown]
	.quad	0
	.quad	0
	.section	.debug_str,"MS",@progbits,1
.Linfo_string0:
	.asciz	"triton"                        ; string offset=0
.Linfo_string1:
	.asciz	"int8_utils_aot.py"             ; string offset=7
.Linfo_string2:
	.asciz	"/root/src/amdgpu-assembly/repos/vllm-project__vllm/triton_aot_kernels" ; string offset=25
.Linfo_string3:
	.asciz	"_per_token_quant_int8"         ; string offset=95
	.section	".note.GNU-stack","",@progbits
	.amdgpu_metadata
---
amdhsa.kernels:
  - .agpr_count:     0
    .args:
      - .address_space:  global
        .offset:         0
        .size:           8
        .value_kind:     global_buffer
      - .address_space:  global
        .offset:         8
        .size:           8
        .value_kind:     global_buffer
      - .address_space:  global
        .offset:         16
        .size:           8
        .value_kind:     global_buffer
      - .offset:         24
        .size:           4
        .value_kind:     by_value
      - .offset:         28
        .size:           4
        .value_kind:     by_value
      - .offset:         32
        .size:           4
        .value_kind:     by_value
      - .address_space:  global
        .offset:         40
        .size:           8
        .value_kind:     global_buffer
      - .address_space:  global
        .offset:         48
        .size:           8
        .value_kind:     global_buffer
    .group_segment_fixed_size: 0
    .kernarg_segment_align: 8
    .kernarg_segment_size: 56
    .max_flat_workgroup_size: 256
    .name:           _per_token_quant_int8
    .private_segment_fixed_size: 0
    .sgpr_count:     30
    .sgpr_spill_count: 0
    .symbol:         _per_token_quant_int8.kd
    .uniform_work_group_size: 1
    .uses_dynamic_stack: false
    .vgpr_count:     17
    .vgpr_spill_count: 0
    .wavefront_size: 64
amdhsa.target:   amdgcn-amd-amdhsa--gfx950
amdhsa.version:
  - 1
  - 2
...

	.end_amdgpu_metadata
	.section	.debug_line,"",@progbits
.Lline_table_start0:
